;; amdgpu-corpus repo=ROCm/rocFFT kind=compiled arch=gfx1100 opt=O3
	.text
	.amdgcn_target "amdgcn-amd-amdhsa--gfx1100"
	.amdhsa_code_object_version 6
	.protected	fft_rtc_back_len320_factors_10_4_4_2_wgs_64_tpt_16_halfLds_sp_ip_CI_unitstride_sbrr_R2C_dirReg ; -- Begin function fft_rtc_back_len320_factors_10_4_4_2_wgs_64_tpt_16_halfLds_sp_ip_CI_unitstride_sbrr_R2C_dirReg
	.globl	fft_rtc_back_len320_factors_10_4_4_2_wgs_64_tpt_16_halfLds_sp_ip_CI_unitstride_sbrr_R2C_dirReg
	.p2align	8
	.type	fft_rtc_back_len320_factors_10_4_4_2_wgs_64_tpt_16_halfLds_sp_ip_CI_unitstride_sbrr_R2C_dirReg,@function
fft_rtc_back_len320_factors_10_4_4_2_wgs_64_tpt_16_halfLds_sp_ip_CI_unitstride_sbrr_R2C_dirReg: ; @fft_rtc_back_len320_factors_10_4_4_2_wgs_64_tpt_16_halfLds_sp_ip_CI_unitstride_sbrr_R2C_dirReg
; %bb.0:
	s_clause 0x2
	s_load_b128 s[4:7], s[0:1], 0x0
	s_load_b64 s[8:9], s[0:1], 0x50
	s_load_b64 s[10:11], s[0:1], 0x18
	v_lshrrev_b32_e32 v9, 4, v0
	v_mov_b32_e32 v1, 0
	v_mov_b32_e32 v3, 0
	;; [unrolled: 1-line block ×3, first 2 shown]
	s_delay_alu instid0(VALU_DEP_4) | instskip(NEXT) | instid1(VALU_DEP_4)
	v_lshl_or_b32 v5, s15, 2, v9
	v_mov_b32_e32 v6, v1
	s_waitcnt lgkmcnt(0)
	v_cmp_lt_u64_e64 s2, s[6:7], 2
	s_delay_alu instid0(VALU_DEP_1)
	s_and_b32 vcc_lo, exec_lo, s2
	s_cbranch_vccnz .LBB0_8
; %bb.1:
	s_load_b64 s[2:3], s[0:1], 0x10
	v_mov_b32_e32 v3, 0
	s_add_u32 s12, s10, 8
	v_mov_b32_e32 v4, 0
	s_addc_u32 s13, s11, 0
	s_mov_b64 s[16:17], 1
	s_waitcnt lgkmcnt(0)
	s_add_u32 s14, s2, 8
	s_addc_u32 s15, s3, 0
.LBB0_2:                                ; =>This Inner Loop Header: Depth=1
	s_load_b64 s[18:19], s[14:15], 0x0
                                        ; implicit-def: $vgpr7_vgpr8
	s_mov_b32 s2, exec_lo
	s_waitcnt lgkmcnt(0)
	v_or_b32_e32 v2, s19, v6
	s_delay_alu instid0(VALU_DEP_1)
	v_cmpx_ne_u64_e32 0, v[1:2]
	s_xor_b32 s3, exec_lo, s2
	s_cbranch_execz .LBB0_4
; %bb.3:                                ;   in Loop: Header=BB0_2 Depth=1
	v_cvt_f32_u32_e32 v2, s18
	v_cvt_f32_u32_e32 v7, s19
	s_sub_u32 s2, 0, s18
	s_subb_u32 s20, 0, s19
	s_delay_alu instid0(VALU_DEP_1) | instskip(NEXT) | instid1(VALU_DEP_1)
	v_fmac_f32_e32 v2, 0x4f800000, v7
	v_rcp_f32_e32 v2, v2
	s_waitcnt_depctr 0xfff
	v_mul_f32_e32 v2, 0x5f7ffffc, v2
	s_delay_alu instid0(VALU_DEP_1) | instskip(NEXT) | instid1(VALU_DEP_1)
	v_mul_f32_e32 v7, 0x2f800000, v2
	v_trunc_f32_e32 v7, v7
	s_delay_alu instid0(VALU_DEP_1) | instskip(SKIP_1) | instid1(VALU_DEP_2)
	v_fmac_f32_e32 v2, 0xcf800000, v7
	v_cvt_u32_f32_e32 v7, v7
	v_cvt_u32_f32_e32 v2, v2
	s_delay_alu instid0(VALU_DEP_2) | instskip(NEXT) | instid1(VALU_DEP_2)
	v_mul_lo_u32 v8, s2, v7
	v_mul_hi_u32 v10, s2, v2
	v_mul_lo_u32 v11, s20, v2
	s_delay_alu instid0(VALU_DEP_2) | instskip(SKIP_1) | instid1(VALU_DEP_2)
	v_add_nc_u32_e32 v8, v10, v8
	v_mul_lo_u32 v10, s2, v2
	v_add_nc_u32_e32 v8, v8, v11
	s_delay_alu instid0(VALU_DEP_2) | instskip(NEXT) | instid1(VALU_DEP_2)
	v_mul_hi_u32 v11, v2, v10
	v_mul_lo_u32 v12, v2, v8
	v_mul_hi_u32 v13, v2, v8
	v_mul_hi_u32 v14, v7, v10
	v_mul_lo_u32 v10, v7, v10
	v_mul_hi_u32 v15, v7, v8
	v_mul_lo_u32 v8, v7, v8
	v_add_co_u32 v11, vcc_lo, v11, v12
	v_add_co_ci_u32_e32 v12, vcc_lo, 0, v13, vcc_lo
	s_delay_alu instid0(VALU_DEP_2) | instskip(NEXT) | instid1(VALU_DEP_2)
	v_add_co_u32 v10, vcc_lo, v11, v10
	v_add_co_ci_u32_e32 v10, vcc_lo, v12, v14, vcc_lo
	v_add_co_ci_u32_e32 v11, vcc_lo, 0, v15, vcc_lo
	s_delay_alu instid0(VALU_DEP_2) | instskip(NEXT) | instid1(VALU_DEP_2)
	v_add_co_u32 v8, vcc_lo, v10, v8
	v_add_co_ci_u32_e32 v10, vcc_lo, 0, v11, vcc_lo
	s_delay_alu instid0(VALU_DEP_2) | instskip(NEXT) | instid1(VALU_DEP_2)
	v_add_co_u32 v2, vcc_lo, v2, v8
	v_add_co_ci_u32_e32 v7, vcc_lo, v7, v10, vcc_lo
	s_delay_alu instid0(VALU_DEP_2) | instskip(SKIP_1) | instid1(VALU_DEP_3)
	v_mul_hi_u32 v8, s2, v2
	v_mul_lo_u32 v11, s20, v2
	v_mul_lo_u32 v10, s2, v7
	s_delay_alu instid0(VALU_DEP_1) | instskip(SKIP_1) | instid1(VALU_DEP_2)
	v_add_nc_u32_e32 v8, v8, v10
	v_mul_lo_u32 v10, s2, v2
	v_add_nc_u32_e32 v8, v8, v11
	s_delay_alu instid0(VALU_DEP_2) | instskip(NEXT) | instid1(VALU_DEP_2)
	v_mul_hi_u32 v11, v2, v10
	v_mul_lo_u32 v12, v2, v8
	v_mul_hi_u32 v13, v2, v8
	v_mul_hi_u32 v14, v7, v10
	v_mul_lo_u32 v10, v7, v10
	v_mul_hi_u32 v15, v7, v8
	v_mul_lo_u32 v8, v7, v8
	v_add_co_u32 v11, vcc_lo, v11, v12
	v_add_co_ci_u32_e32 v12, vcc_lo, 0, v13, vcc_lo
	s_delay_alu instid0(VALU_DEP_2) | instskip(NEXT) | instid1(VALU_DEP_2)
	v_add_co_u32 v10, vcc_lo, v11, v10
	v_add_co_ci_u32_e32 v10, vcc_lo, v12, v14, vcc_lo
	v_add_co_ci_u32_e32 v11, vcc_lo, 0, v15, vcc_lo
	s_delay_alu instid0(VALU_DEP_2) | instskip(NEXT) | instid1(VALU_DEP_2)
	v_add_co_u32 v8, vcc_lo, v10, v8
	v_add_co_ci_u32_e32 v10, vcc_lo, 0, v11, vcc_lo
	s_delay_alu instid0(VALU_DEP_2) | instskip(NEXT) | instid1(VALU_DEP_2)
	v_add_co_u32 v2, vcc_lo, v2, v8
	v_add_co_ci_u32_e32 v14, vcc_lo, v7, v10, vcc_lo
	s_delay_alu instid0(VALU_DEP_2) | instskip(SKIP_1) | instid1(VALU_DEP_3)
	v_mul_hi_u32 v15, v5, v2
	v_mad_u64_u32 v[10:11], null, v6, v2, 0
	v_mad_u64_u32 v[7:8], null, v5, v14, 0
	;; [unrolled: 1-line block ×3, first 2 shown]
	s_delay_alu instid0(VALU_DEP_2) | instskip(NEXT) | instid1(VALU_DEP_3)
	v_add_co_u32 v2, vcc_lo, v15, v7
	v_add_co_ci_u32_e32 v7, vcc_lo, 0, v8, vcc_lo
	s_delay_alu instid0(VALU_DEP_2) | instskip(NEXT) | instid1(VALU_DEP_2)
	v_add_co_u32 v2, vcc_lo, v2, v10
	v_add_co_ci_u32_e32 v2, vcc_lo, v7, v11, vcc_lo
	v_add_co_ci_u32_e32 v7, vcc_lo, 0, v13, vcc_lo
	s_delay_alu instid0(VALU_DEP_2) | instskip(NEXT) | instid1(VALU_DEP_2)
	v_add_co_u32 v2, vcc_lo, v2, v12
	v_add_co_ci_u32_e32 v10, vcc_lo, 0, v7, vcc_lo
	s_delay_alu instid0(VALU_DEP_2) | instskip(SKIP_1) | instid1(VALU_DEP_3)
	v_mul_lo_u32 v11, s19, v2
	v_mad_u64_u32 v[7:8], null, s18, v2, 0
	v_mul_lo_u32 v12, s18, v10
	s_delay_alu instid0(VALU_DEP_2) | instskip(NEXT) | instid1(VALU_DEP_2)
	v_sub_co_u32 v7, vcc_lo, v5, v7
	v_add3_u32 v8, v8, v12, v11
	s_delay_alu instid0(VALU_DEP_1) | instskip(NEXT) | instid1(VALU_DEP_1)
	v_sub_nc_u32_e32 v11, v6, v8
	v_subrev_co_ci_u32_e64 v11, s2, s19, v11, vcc_lo
	v_add_co_u32 v12, s2, v2, 2
	s_delay_alu instid0(VALU_DEP_1) | instskip(SKIP_3) | instid1(VALU_DEP_3)
	v_add_co_ci_u32_e64 v13, s2, 0, v10, s2
	v_sub_co_u32 v14, s2, v7, s18
	v_sub_co_ci_u32_e32 v8, vcc_lo, v6, v8, vcc_lo
	v_subrev_co_ci_u32_e64 v11, s2, 0, v11, s2
	v_cmp_le_u32_e32 vcc_lo, s18, v14
	s_delay_alu instid0(VALU_DEP_3) | instskip(SKIP_1) | instid1(VALU_DEP_4)
	v_cmp_eq_u32_e64 s2, s19, v8
	v_cndmask_b32_e64 v14, 0, -1, vcc_lo
	v_cmp_le_u32_e32 vcc_lo, s19, v11
	v_cndmask_b32_e64 v15, 0, -1, vcc_lo
	v_cmp_le_u32_e32 vcc_lo, s18, v7
	;; [unrolled: 2-line block ×3, first 2 shown]
	v_cndmask_b32_e64 v16, 0, -1, vcc_lo
	v_cmp_eq_u32_e32 vcc_lo, s19, v11
	s_delay_alu instid0(VALU_DEP_2) | instskip(SKIP_3) | instid1(VALU_DEP_3)
	v_cndmask_b32_e64 v7, v16, v7, s2
	v_cndmask_b32_e32 v11, v15, v14, vcc_lo
	v_add_co_u32 v14, vcc_lo, v2, 1
	v_add_co_ci_u32_e32 v15, vcc_lo, 0, v10, vcc_lo
	v_cmp_ne_u32_e32 vcc_lo, 0, v11
	s_delay_alu instid0(VALU_DEP_2) | instskip(SKIP_1) | instid1(VALU_DEP_2)
	v_dual_cndmask_b32 v8, v15, v13 :: v_dual_cndmask_b32 v11, v14, v12
	v_cmp_ne_u32_e32 vcc_lo, 0, v7
	v_cndmask_b32_e32 v7, v2, v11, vcc_lo
	s_delay_alu instid0(VALU_DEP_3)
	v_cndmask_b32_e32 v8, v10, v8, vcc_lo
.LBB0_4:                                ;   in Loop: Header=BB0_2 Depth=1
	s_and_not1_saveexec_b32 s2, s3
	s_cbranch_execz .LBB0_6
; %bb.5:                                ;   in Loop: Header=BB0_2 Depth=1
	v_cvt_f32_u32_e32 v2, s18
	s_sub_i32 s3, 0, s18
	s_delay_alu instid0(VALU_DEP_1) | instskip(SKIP_2) | instid1(VALU_DEP_1)
	v_rcp_iflag_f32_e32 v2, v2
	s_waitcnt_depctr 0xfff
	v_mul_f32_e32 v2, 0x4f7ffffe, v2
	v_cvt_u32_f32_e32 v2, v2
	s_delay_alu instid0(VALU_DEP_1) | instskip(NEXT) | instid1(VALU_DEP_1)
	v_mul_lo_u32 v7, s3, v2
	v_mul_hi_u32 v7, v2, v7
	s_delay_alu instid0(VALU_DEP_1) | instskip(NEXT) | instid1(VALU_DEP_1)
	v_add_nc_u32_e32 v2, v2, v7
	v_mul_hi_u32 v2, v5, v2
	s_delay_alu instid0(VALU_DEP_1) | instskip(SKIP_1) | instid1(VALU_DEP_2)
	v_mul_lo_u32 v7, v2, s18
	v_add_nc_u32_e32 v8, 1, v2
	v_sub_nc_u32_e32 v7, v5, v7
	s_delay_alu instid0(VALU_DEP_1) | instskip(SKIP_1) | instid1(VALU_DEP_2)
	v_subrev_nc_u32_e32 v10, s18, v7
	v_cmp_le_u32_e32 vcc_lo, s18, v7
	v_dual_cndmask_b32 v7, v7, v10 :: v_dual_cndmask_b32 v2, v2, v8
	s_delay_alu instid0(VALU_DEP_1) | instskip(NEXT) | instid1(VALU_DEP_2)
	v_cmp_le_u32_e32 vcc_lo, s18, v7
	v_add_nc_u32_e32 v8, 1, v2
	s_delay_alu instid0(VALU_DEP_1)
	v_dual_cndmask_b32 v7, v2, v8 :: v_dual_mov_b32 v8, v1
.LBB0_6:                                ;   in Loop: Header=BB0_2 Depth=1
	s_or_b32 exec_lo, exec_lo, s2
	s_load_b64 s[2:3], s[12:13], 0x0
	s_delay_alu instid0(VALU_DEP_1) | instskip(NEXT) | instid1(VALU_DEP_2)
	v_mul_lo_u32 v2, v8, s18
	v_mul_lo_u32 v12, v7, s19
	v_mad_u64_u32 v[10:11], null, v7, s18, 0
	s_add_u32 s16, s16, 1
	s_addc_u32 s17, s17, 0
	s_add_u32 s12, s12, 8
	s_addc_u32 s13, s13, 0
	;; [unrolled: 2-line block ×3, first 2 shown]
	s_delay_alu instid0(VALU_DEP_1) | instskip(SKIP_1) | instid1(VALU_DEP_2)
	v_add3_u32 v2, v11, v12, v2
	v_sub_co_u32 v10, vcc_lo, v5, v10
	v_sub_co_ci_u32_e32 v2, vcc_lo, v6, v2, vcc_lo
	s_waitcnt lgkmcnt(0)
	s_delay_alu instid0(VALU_DEP_2) | instskip(NEXT) | instid1(VALU_DEP_2)
	v_mul_lo_u32 v11, s3, v10
	v_mul_lo_u32 v2, s2, v2
	v_mad_u64_u32 v[5:6], null, s2, v10, v[3:4]
	v_cmp_ge_u64_e64 s2, s[16:17], s[6:7]
	s_delay_alu instid0(VALU_DEP_1) | instskip(NEXT) | instid1(VALU_DEP_2)
	s_and_b32 vcc_lo, exec_lo, s2
	v_add3_u32 v4, v11, v6, v2
	s_delay_alu instid0(VALU_DEP_3)
	v_mov_b32_e32 v3, v5
	s_cbranch_vccnz .LBB0_9
; %bb.7:                                ;   in Loop: Header=BB0_2 Depth=1
	v_dual_mov_b32 v5, v7 :: v_dual_mov_b32 v6, v8
	s_branch .LBB0_2
.LBB0_8:
	v_dual_mov_b32 v8, v6 :: v_dual_mov_b32 v7, v5
.LBB0_9:
	s_lshl_b64 s[2:3], s[6:7], 3
	v_and_b32_e32 v16, 15, v0
	s_add_u32 s2, s10, s2
	s_addc_u32 s3, s11, s3
	s_load_b64 s[2:3], s[2:3], 0x0
	s_load_b64 s[0:1], s[0:1], 0x20
	v_or_b32_e32 v20, 16, v16
	v_or_b32_e32 v30, 0x50, v16
	;; [unrolled: 1-line block ×9, first 2 shown]
	s_waitcnt lgkmcnt(0)
	v_mul_lo_u32 v2, s2, v8
	v_mul_lo_u32 v5, s3, v7
	v_mad_u64_u32 v[0:1], null, s2, v7, v[3:4]
	v_cmp_gt_u64_e32 vcc_lo, s[0:1], v[7:8]
	v_cmp_le_u64_e64 s0, s[0:1], v[7:8]
	s_delay_alu instid0(VALU_DEP_3) | instskip(NEXT) | instid1(VALU_DEP_2)
	v_add3_u32 v1, v5, v1, v2
	s_and_saveexec_b32 s1, s0
	s_delay_alu instid0(SALU_CYCLE_1)
	s_xor_b32 s0, exec_lo, s1
	s_cbranch_execz .LBB0_11
; %bb.10:
	v_mov_b32_e32 v17, 0
	v_or_b32_e32 v20, 16, v16
	v_or_b32_e32 v30, 0x50, v16
	;; [unrolled: 1-line block ×9, first 2 shown]
	v_mov_b32_e32 v21, v17
	v_mov_b32_e32 v37, v17
	;; [unrolled: 1-line block ×9, first 2 shown]
.LBB0_11:
	s_or_saveexec_b32 s1, s0
	v_mul_u32_u24_e32 v2, 0x141, v9
	v_lshlrev_b64 v[18:19], 3, v[0:1]
	v_lshlrev_b32_e32 v40, 3, v16
	s_delay_alu instid0(VALU_DEP_3)
	v_lshlrev_b32_e32 v38, 3, v2
	s_xor_b32 exec_lo, exec_lo, s1
	s_cbranch_execz .LBB0_13
; %bb.12:
	s_delay_alu instid0(VALU_DEP_3) | instskip(NEXT) | instid1(VALU_DEP_1)
	v_add_co_u32 v0, s0, s8, v18
	v_add_co_ci_u32_e64 v1, s0, s9, v19, s0
	v_mov_b32_e32 v17, 0
	s_delay_alu instid0(VALU_DEP_3) | instskip(NEXT) | instid1(VALU_DEP_1)
	v_add_co_u32 v0, s0, v0, v40
	v_add_co_ci_u32_e64 v1, s0, 0, v1, s0
	v_add3_u32 v39, 0, v38, v40
	s_delay_alu instid0(VALU_DEP_4)
	v_mov_b32_e32 v21, v17
	v_mov_b32_e32 v37, v17
	s_clause 0x13
	global_load_b64 v[2:3], v[0:1], off
	global_load_b64 v[4:5], v[0:1], off offset:128
	global_load_b64 v[6:7], v[0:1], off offset:256
	;; [unrolled: 1-line block ×19, first 2 shown]
	v_mov_b32_e32 v35, v17
	v_mov_b32_e32 v33, v17
	;; [unrolled: 1-line block ×7, first 2 shown]
	v_add_nc_u32_e32 v65, 0x800, v39
	s_waitcnt vmcnt(18)
	ds_store_2addr_b64 v39, v[2:3], v[4:5] offset1:16
	s_waitcnt vmcnt(16)
	ds_store_2addr_b64 v39, v[6:7], v[8:9] offset0:32 offset1:48
	s_waitcnt vmcnt(14)
	ds_store_2addr_b64 v39, v[10:11], v[12:13] offset0:64 offset1:80
	;; [unrolled: 2-line block ×7, first 2 shown]
	s_waitcnt vmcnt(2)
	ds_store_2addr_b64 v65, v[59:60], v[61:62] offset1:16
	s_waitcnt vmcnt(0)
	ds_store_2addr_b64 v65, v[63:64], v[0:1] offset0:32 offset1:48
.LBB0_13:
	s_or_b32 exec_lo, exec_lo, s1
	s_delay_alu instid0(VALU_DEP_1)
	v_add3_u32 v43, 0, v40, v38
	s_waitcnt lgkmcnt(0)
	s_barrier
	buffer_gl0_inv
	v_cmp_gt_u32_e64 s0, 10, v16
	ds_load_2addr_b64 v[0:3], v43 offset0:16 offset1:32
	ds_load_2addr_b64 v[64:67], v43 offset0:80 offset1:96
	;; [unrolled: 1-line block ×4, first 2 shown]
	v_add_nc_u32_e32 v44, 0x800, v43
	v_add_nc_u32_e32 v42, 0, v38
	s_waitcnt lgkmcnt(2)
	v_dual_add_f32 v46, v2, v66 :: v_dual_add_f32 v49, v0, v64
	s_waitcnt lgkmcnt(0)
	v_sub_f32_e32 v45, v57, v70
	ds_load_2addr_b64 v[12:15], v44 offset0:16 offset1:32
	v_sub_f32_e32 v39, v58, v71
	v_dual_add_f32 v62, v57, v70 :: v_dual_add_nc_u32 v41, v42, v40
	v_add_f32_e32 v48, v3, v67
	v_sub_f32_e32 v77, v58, v67
	v_add_f32_e32 v74, v46, v57
	v_add_f32_e32 v46, v1, v65
	ds_load_2addr_b64 v[4:7], v43 offset0:48 offset1:64
	ds_load_2addr_b64 v[8:11], v43 offset0:112 offset1:128
	v_dual_sub_f32 v60, v66, v57 :: v_dual_sub_f32 v61, v67, v58
	v_dual_sub_f32 v76, v57, v66 :: v_dual_add_f32 v63, v58, v71
	v_add_f32_e32 v54, v55, v68
	v_dual_sub_f32 v52, v64, v55 :: v_dual_sub_f32 v51, v55, v64
	v_dual_add_f32 v81, v46, v56 :: v_dual_add_f32 v50, v56, v69
	v_sub_f32_e32 v46, v55, v68
	v_dual_add_f32 v80, v49, v55 :: v_dual_sub_f32 v55, v56, v65
	s_waitcnt lgkmcnt(2)
	v_dual_sub_f32 v47, v67, v15 :: v_dual_add_f32 v78, v66, v14
	v_add_f32_e32 v79, v67, v15
	v_sub_f32_e32 v53, v66, v14
	v_add_f32_e32 v75, v48, v58
	v_dual_sub_f32 v49, v56, v69 :: v_dual_sub_f32 v48, v65, v56
	v_sub_f32_e32 v83, v71, v15
	ds_load_b64 v[72:73], v41
	v_dual_sub_f32 v57, v65, v13 :: v_dual_sub_f32 v56, v64, v12
	v_dual_add_f32 v59, v64, v12 :: v_dual_add_f32 v58, v65, v13
	ds_load_2addr_b64 v[64:67], v43 offset0:176 offset1:192
	v_dual_sub_f32 v82, v70, v14 :: v_dual_add_f32 v85, v75, v71
	v_dual_add_f32 v84, v74, v70 :: v_dual_sub_f32 v87, v15, v71
	v_dual_sub_f32 v86, v14, v70 :: v_dual_sub_f32 v89, v68, v12
	v_sub_f32_e32 v88, v12, v68
	s_delay_alu instid0(VALU_DEP_4)
	v_dual_add_f32 v68, v80, v68 :: v_dual_add_f32 v15, v85, v15
	v_add_f32_e32 v70, v81, v69
	v_sub_f32_e32 v81, v69, v13
	ds_load_b64 v[74:75], v43 offset:2432
	s_waitcnt lgkmcnt(3)
	v_dual_sub_f32 v80, v13, v69 :: v_dual_add_f32 v97, v4, v8
	s_waitcnt lgkmcnt(2)
	v_dual_add_f32 v69, v72, v6 :: v_dual_sub_f32 v92, v11, v7
	v_fma_f32 v79, -0.5, v79, v3
	v_fma_f32 v63, -0.5, v63, v3
	v_add_f32_e32 v76, v76, v82
	s_waitcnt lgkmcnt(1)
	v_sub_f32_e32 v95, v10, v66
	v_dual_add_f32 v91, v11, v67 :: v_dual_add_f32 v14, v84, v14
	v_dual_add_f32 v85, v70, v13 :: v_dual_add_f32 v84, v68, v12
	v_add_f32_e32 v13, v73, v7
	v_dual_add_f32 v93, v69, v10 :: v_dual_add_nc_u32 v12, 0x400, v43
	v_sub_f32_e32 v90, v10, v6
	v_sub_f32_e32 v94, v11, v67
	s_delay_alu instid0(VALU_DEP_4)
	v_add_f32_e32 v13, v13, v11
	ds_load_2addr_b64 v[68:71], v12 offset0:112 offset1:128
	s_waitcnt lgkmcnt(1)
	v_dual_add_f32 v98, v8, v74 :: v_dual_sub_f32 v105, v65, v9
	v_dual_sub_f32 v100, v8, v64 :: v_dual_add_f32 v93, v93, v66
	v_dual_sub_f32 v101, v64, v8 :: v_dual_add_f32 v102, v9, v75
	;; [unrolled: 1-line block ×3, first 2 shown]
	v_dual_add_f32 v96, v10, v66 :: v_dual_sub_f32 v11, v7, v11
	v_add_f32_e32 v13, v13, v67
	s_delay_alu instid0(VALU_DEP_3)
	v_dual_add_f32 v97, v97, v64 :: v_dual_add_f32 v106, v8, v65
	v_dual_sub_f32 v10, v6, v10 :: v_dual_sub_f32 v99, v9, v75
	v_sub_f32_e32 v104, v9, v65
	v_fma_f32 v91, -0.5, v91, v73
	s_waitcnt lgkmcnt(0)
	s_barrier
	v_dual_sub_f32 v9, v67, v71 :: v_dual_sub_f32 v8, v66, v70
	v_dual_sub_f32 v66, v70, v66 :: v_dual_add_f32 v107, v7, v71
	v_sub_f32_e32 v67, v71, v67
	v_sub_f32_e32 v108, v7, v71
	s_delay_alu instid0(VALU_DEP_4) | instskip(SKIP_4) | instid1(VALU_DEP_3)
	v_add_f32_e32 v90, v90, v8
	v_fma_f32 v8, -0.5, v78, v2
	v_dual_fmac_f32 v73, -0.5, v107 :: v_dual_add_f32 v92, v92, v9
	v_dual_fmamk_f32 v78, v45, 0xbf737871, v79 :: v_dual_add_f32 v107, v6, v70
	v_fmac_f32_e32 v79, 0x3f737871, v45
	v_dual_fmamk_f32 v109, v95, 0xbf737871, v73 :: v_dual_sub_f32 v112, v65, v69
	v_dual_fmac_f32 v73, 0x3f737871, v95 :: v_dual_sub_f32 v114, v64, v68
	s_delay_alu instid0(VALU_DEP_4)
	v_fma_f32 v107, -0.5, v107, v72
	v_add_f32_e32 v77, v77, v83
	v_dual_fmamk_f32 v83, v39, 0x3f737871, v8 :: v_dual_sub_f32 v110, v6, v70
	v_fmac_f32_e32 v8, 0xbf737871, v39
	v_fmac_f32_e32 v79, 0xbf167918, v53
	v_fmamk_f32 v82, v94, 0x3f737871, v107
	v_fmac_f32_e32 v107, 0xbf737871, v94
	s_delay_alu instid0(VALU_DEP_4) | instskip(SKIP_2) | instid1(VALU_DEP_4)
	v_dual_add_f32 v111, v64, v68 :: v_dual_fmac_f32 v8, 0x3f167918, v47
	v_fma_f32 v64, -0.5, v62, v2
	v_fmamk_f32 v62, v53, 0x3f737871, v63
	v_fmac_f32_e32 v107, 0x3f167918, v108
	s_delay_alu instid0(VALU_DEP_4) | instskip(SKIP_1) | instid1(VALU_DEP_4)
	v_dual_fmac_f32 v79, 0x3e9e377a, v77 :: v_dual_fmac_f32 v8, 0x3e9e377a, v76
	v_add_f32_e32 v70, v93, v70
	v_dual_fmac_f32 v62, 0x3f167918, v45 :: v_dual_add_f32 v13, v13, v71
	s_delay_alu instid0(VALU_DEP_3) | instskip(SKIP_1) | instid1(VALU_DEP_4)
	v_mul_f32_e32 v9, 0xbf737871, v79
	v_fmac_f32_e32 v107, 0x3e9e377a, v90
	v_add_f32_e32 v2, v70, v14
	v_fma_f32 v72, -0.5, v96, v72
	s_delay_alu instid0(VALU_DEP_4) | instskip(SKIP_4) | instid1(VALU_DEP_4)
	v_dual_add_f32 v66, v10, v66 :: v_dual_fmac_f32 v9, 0xbe9e377a, v8
	v_mul_f32_e32 v79, 0xbe9e377a, v79
	v_fmac_f32_e32 v73, 0xbf167918, v110
	v_add_f32_e32 v113, v65, v69
	v_dual_fmamk_f32 v65, v47, 0xbf737871, v64 :: v_dual_sub_f32 v10, v70, v14
	v_dual_add_f32 v6, v107, v9 :: v_dual_fmac_f32 v79, 0x3f737871, v8
	s_delay_alu instid0(VALU_DEP_4) | instskip(NEXT) | instid1(VALU_DEP_3)
	v_dual_sub_f32 v8, v107, v9 :: v_dual_fmac_f32 v73, 0x3e9e377a, v92
	v_fmac_f32_e32 v65, 0xbf167918, v39
	v_fmac_f32_e32 v78, 0x3f167918, v53
	;; [unrolled: 1-line block ×4, first 2 shown]
	v_add_f32_e32 v7, v73, v79
	v_sub_f32_e32 v9, v73, v79
	v_add_f32_e32 v73, v60, v86
	v_fmamk_f32 v60, v108, 0xbf737871, v72
	v_fmac_f32_e32 v63, 0xbf167918, v45
	v_dual_add_f32 v67, v11, v67 :: v_dual_fmac_f32 v78, 0x3e9e377a, v77
	v_dual_sub_f32 v11, v13, v15 :: v_dual_fmac_f32 v72, 0x3f737871, v108
	s_delay_alu instid0(VALU_DEP_4) | instskip(SKIP_2) | instid1(VALU_DEP_4)
	v_fmac_f32_e32 v60, 0xbf167918, v94
	v_dual_fmac_f32 v109, 0x3f167918, v110 :: v_dual_fmac_f32 v64, 0x3f167918, v39
	v_fmac_f32_e32 v82, 0xbf167918, v108
	v_fmac_f32_e32 v72, 0x3f167918, v94
	s_delay_alu instid0(VALU_DEP_4) | instskip(NEXT) | instid1(VALU_DEP_4)
	v_dual_fmac_f32 v60, 0x3e9e377a, v66 :: v_dual_fmac_f32 v65, 0x3e9e377a, v73
	v_fmac_f32_e32 v109, 0x3e9e377a, v92
	v_fmac_f32_e32 v83, 0xbf167918, v47
	;; [unrolled: 1-line block ×3, first 2 shown]
	v_fma_f32 v73, -0.5, v50, v1
	v_dual_mul_f32 v86, 0x3f167918, v65 :: v_dual_add_f32 v79, v61, v87
	v_fmamk_f32 v61, v110, 0x3f737871, v91
	v_dual_add_f32 v3, v13, v15 :: v_dual_fmac_f32 v82, 0x3e9e377a, v90
	v_mul_f32_e32 v15, 0xbf737871, v78
	s_delay_alu instid0(VALU_DEP_4) | instskip(NEXT) | instid1(VALU_DEP_4)
	v_fmac_f32_e32 v62, 0x3e9e377a, v79
	v_fmac_f32_e32 v61, 0x3f167918, v95
	v_add_f32_e32 v47, v51, v89
	v_fmac_f32_e32 v1, -0.5, v58
	v_fmamk_f32 v58, v56, 0x3f737871, v73
	v_fmac_f32_e32 v86, 0x3f4f1bbd, v62
	v_fmac_f32_e32 v63, 0x3e9e377a, v79
	;; [unrolled: 1-line block ×3, first 2 shown]
	v_mul_f32_e32 v71, 0xbf167918, v62
	v_fmac_f32_e32 v58, 0x3f167918, v46
	v_fma_f32 v50, -0.5, v98, v4
	v_mul_f32_e32 v39, 0xbf167918, v63
	v_fmac_f32_e32 v91, 0xbf737871, v110
	v_mul_f32_e32 v45, 0xbf4f1bbd, v63
	v_fmac_f32_e32 v72, 0x3e9e377a, v66
	v_fmac_f32_e32 v73, 0xbf737871, v56
	v_fmac_f32_e32 v39, 0xbf4f1bbd, v64
	v_fmac_f32_e32 v83, 0x3e9e377a, v76
	v_dual_fmac_f32 v91, 0xbf167918, v95 :: v_dual_add_f32 v14, v61, v86
	s_delay_alu instid0(VALU_DEP_3) | instskip(NEXT) | instid1(VALU_DEP_3)
	v_dual_sub_f32 v61, v61, v86 :: v_dual_sub_f32 v66, v72, v39
	v_fmac_f32_e32 v15, 0x3e9e377a, v83
	v_fmac_f32_e32 v71, 0x3f4f1bbd, v65
	v_mul_f32_e32 v65, 0x3e9e377a, v78
	v_fmac_f32_e32 v91, 0x3e9e377a, v67
	s_delay_alu instid0(VALU_DEP_4)
	v_dual_fmac_f32 v73, 0xbf167918, v46 :: v_dual_add_f32 v62, v82, v15
	v_sub_f32_e32 v53, v82, v15
	v_fma_f32 v15, -0.5, v54, v0
	v_fma_f32 v0, -0.5, v59, v0
	v_add_f32_e32 v13, v60, v71
	v_dual_sub_f32 v60, v60, v71 :: v_dual_fmamk_f32 v71, v46, 0xbf737871, v1
	v_fmac_f32_e32 v1, 0x3f737871, v46
	s_delay_alu instid0(VALU_DEP_4) | instskip(SKIP_4) | instid1(VALU_DEP_4)
	v_fmamk_f32 v59, v49, 0x3f737871, v0
	v_fmac_f32_e32 v0, 0xbf737871, v49
	v_dual_fmac_f32 v45, 0x3f167918, v64 :: v_dual_add_f32 v64, v72, v39
	v_fmamk_f32 v39, v57, 0xbf737871, v15
	v_fmac_f32_e32 v15, 0x3f737871, v57
	v_fmac_f32_e32 v0, 0x3f167918, v57
	v_dual_add_f32 v46, v55, v81 :: v_dual_fmac_f32 v65, 0x3f737871, v83
	v_sub_f32_e32 v67, v91, v45
	v_fmac_f32_e32 v39, 0xbf167918, v49
	v_fmac_f32_e32 v15, 0x3f167918, v49
	s_delay_alu instid0(VALU_DEP_4)
	v_dual_fmac_f32 v0, 0x3e9e377a, v47 :: v_dual_add_f32 v63, v109, v65
	v_sub_f32_e32 v54, v109, v65
	v_add_f32_e32 v65, v91, v45
	v_add_f32_e32 v45, v52, v88
	v_fmamk_f32 v52, v112, 0x3f737871, v50
	v_fmac_f32_e32 v50, 0xbf737871, v112
	v_fmac_f32_e32 v71, 0x3f167918, v56
	buffer_gl0_inv
	v_fmac_f32_e32 v52, 0xbf167918, v99
	v_fmac_f32_e32 v50, 0x3f167918, v99
	;; [unrolled: 1-line block ×4, first 2 shown]
	v_add_f32_e32 v45, v48, v80
	v_fmac_f32_e32 v71, 0x3e9e377a, v46
	v_fma_f32 v48, -0.5, v111, v4
	s_delay_alu instid0(VALU_DEP_3) | instskip(SKIP_1) | instid1(VALU_DEP_1)
	v_fmac_f32_e32 v73, 0x3e9e377a, v45
	v_fmac_f32_e32 v1, 0xbf167918, v56
	v_dual_fmac_f32 v58, 0x3e9e377a, v45 :: v_dual_fmac_f32 v1, 0x3e9e377a, v46
	v_sub_f32_e32 v46, v68, v74
	s_delay_alu instid0(VALU_DEP_1) | instskip(SKIP_1) | instid1(VALU_DEP_1)
	v_add_f32_e32 v4, v101, v46
	v_add_f32_e32 v46, v97, v68
	v_dual_fmac_f32 v52, 0x3e9e377a, v4 :: v_dual_add_f32 v55, v46, v74
	v_fma_f32 v46, -0.5, v113, v5
	v_fmac_f32_e32 v50, 0x3e9e377a, v4
	v_add_f32_e32 v4, v106, v69
	v_sub_f32_e32 v45, v74, v68
	s_delay_alu instid0(VALU_DEP_4) | instskip(SKIP_1) | instid1(VALU_DEP_4)
	v_dual_fmac_f32 v5, -0.5, v102 :: v_dual_fmamk_f32 v56, v103, 0x3f737871, v46
	v_fmac_f32_e32 v46, 0xbf737871, v103
	v_dual_add_f32 v74, v4, v75 :: v_dual_fmamk_f32 v51, v99, 0xbf737871, v48
	v_fmac_f32_e32 v48, 0x3f737871, v99
	v_dual_add_f32 v4, v84, v55 :: v_dual_fmac_f32 v59, 0xbf167918, v57
	v_add_f32_e32 v45, v100, v45
	s_delay_alu instid0(VALU_DEP_4) | instskip(NEXT) | instid1(VALU_DEP_4)
	v_fmac_f32_e32 v51, 0xbf167918, v112
	v_fmac_f32_e32 v48, 0x3f167918, v112
	;; [unrolled: 1-line block ×4, first 2 shown]
	v_sub_f32_e32 v47, v75, v69
	v_fmac_f32_e32 v51, 0x3e9e377a, v45
	v_fmac_f32_e32 v48, 0x3e9e377a, v45
	v_fmamk_f32 v57, v114, 0xbf737871, v5
	v_fmac_f32_e32 v5, 0x3f737871, v114
	v_add_f32_e32 v45, v104, v47
	v_dual_sub_f32 v47, v69, v75 :: v_dual_fmac_f32 v56, 0x3f167918, v114
	s_delay_alu instid0(VALU_DEP_4) | instskip(NEXT) | instid1(VALU_DEP_4)
	v_fmac_f32_e32 v57, 0x3f167918, v103
	v_fmac_f32_e32 v5, 0xbf167918, v103
	s_delay_alu instid0(VALU_DEP_3) | instskip(NEXT) | instid1(VALU_DEP_4)
	v_dual_fmac_f32 v46, 0x3e9e377a, v45 :: v_dual_add_f32 v47, v105, v47
	v_fmac_f32_e32 v56, 0x3e9e377a, v45
	v_mul_f32_e32 v75, 0x3f167918, v51
	s_delay_alu instid0(VALU_DEP_3) | instskip(NEXT) | instid1(VALU_DEP_4)
	v_mul_f32_e32 v72, 0xbf167918, v46
	v_fmac_f32_e32 v5, 0x3e9e377a, v47
	v_fmac_f32_e32 v57, 0x3e9e377a, v47
	v_mul_f32_e32 v68, 0xbf167918, v56
	v_mul_f32_e32 v78, 0xbf4f1bbd, v46
	v_fmac_f32_e32 v72, 0xbf4f1bbd, v48
	v_mul_f32_e32 v70, 0xbf737871, v5
	v_mul_f32_e32 v69, 0xbf737871, v57
	;; [unrolled: 1-line block ×4, first 2 shown]
	v_fmac_f32_e32 v68, 0x3f4f1bbd, v51
	v_fmac_f32_e32 v70, 0xbe9e377a, v50
	v_fmac_f32_e32 v69, 0x3e9e377a, v52
	s_delay_alu instid0(VALU_DEP_4) | instskip(NEXT) | instid1(VALU_DEP_4)
	v_dual_fmac_f32 v76, 0x3f737871, v52 :: v_dual_fmac_f32 v77, 0x3f737871, v50
	v_add_f32_e32 v45, v39, v68
	s_delay_alu instid0(VALU_DEP_4)
	v_add_f32_e32 v49, v0, v70
	v_sub_f32_e32 v70, v0, v70
	v_mul_u32_u24_e32 v0, 10, v16
	v_add_f32_e32 v47, v59, v69
	v_fmac_f32_e32 v75, 0x3f4f1bbd, v56
	v_fmac_f32_e32 v78, 0x3f167918, v48
	v_add_f32_e32 v48, v71, v76
	v_sub_f32_e32 v57, v39, v68
	v_sub_f32_e32 v68, v59, v69
	v_dual_add_f32 v50, v1, v77 :: v_dual_sub_f32 v69, v71, v76
	v_sub_f32_e32 v71, v1, v77
	v_and_b32_e32 v1, 0xff, v20
	v_lshl_add_u32 v0, v0, 3, v42
	v_dual_add_f32 v46, v58, v75 :: v_dual_add_nc_u32 v39, -10, v16
	v_add_f32_e32 v51, v15, v72
	v_sub_f32_e32 v72, v15, v72
	v_mul_i32_i24_e32 v15, 10, v20
	v_mul_lo_u16 v1, 0xcd, v1
	ds_store_2addr_b64 v0, v[2:3], v[13:14] offset1:1
	ds_store_2addr_b64 v0, v[62:63], v[6:7] offset0:2 offset1:3
	v_cndmask_b32_e64 v6, v39, v16, s0
	v_add_f32_e32 v5, v85, v74
	v_lshl_add_u32 v15, v15, 3, v42
	v_lshrrev_b16 v2, 11, v1
	ds_store_2addr_b64 v0, v[64:65], v[10:11] offset0:4 offset1:5
	ds_store_2addr_b64 v0, v[60:61], v[53:54] offset0:6 offset1:7
	;; [unrolled: 1-line block ×3, first 2 shown]
	v_mul_i32_i24_e32 v0, 3, v6
	v_mov_b32_e32 v1, 0
	ds_store_2addr_b64 v15, v[4:5], v[45:46] offset1:1
	ds_store_2addr_b64 v15, v[47:48], v[49:50] offset0:2 offset1:3
	v_mul_lo_u16 v5, v2, 10
	v_dual_add_f32 v52, v73, v78 :: v_dual_and_b32 v7, 0xff, v36
	v_lshlrev_b64 v[3:4], 3, v[0:1]
	v_sub_f32_e32 v55, v84, v55
	s_delay_alu instid0(VALU_DEP_4) | instskip(NEXT) | instid1(VALU_DEP_4)
	v_sub_nc_u16 v0, v20, v5
	v_mul_lo_u16 v5, 0xcd, v7
	v_sub_f32_e32 v56, v85, v74
	v_sub_f32_e32 v73, v73, v78
	v_add_co_u32 v9, s0, s4, v3
	s_delay_alu instid0(VALU_DEP_4) | instskip(SKIP_3) | instid1(VALU_DEP_4)
	v_lshrrev_b16 v3, 11, v5
	v_add_co_ci_u32_e64 v10, s0, s5, v4, s0
	v_and_b32_e32 v0, 0xff, v0
	v_sub_f32_e32 v58, v58, v75
	v_mul_lo_u16 v4, v3, 10
	v_and_b32_e32 v7, 0xff, v34
	ds_store_2addr_b64 v15, v[51:52], v[55:56] offset0:4 offset1:5
	ds_store_2addr_b64 v15, v[57:58], v[68:69] offset0:6 offset1:7
	v_mul_u32_u24_e32 v5, 3, v0
	v_sub_nc_u16 v4, v36, v4
	ds_store_2addr_b64 v15, v[70:71], v[72:73] offset0:8 offset1:9
	s_waitcnt lgkmcnt(0)
	s_barrier
	buffer_gl0_inv
	global_load_b128 v[47:50], v[9:10], off
	v_lshlrev_b32_e32 v8, 3, v5
	v_and_b32_e32 v4, 0xff, v4
	v_mul_lo_u16 v5, 0xcd, v7
	v_and_b32_e32 v11, 0xff, v32
	v_lshl_add_u32 v46, v30, 3, v42
	s_clause 0x1
	global_load_b128 v[54:57], v8, s[4:5]
	global_load_b64 v[13:14], v8, s[4:5] offset:16
	v_lshrrev_b16 v5, 11, v5
	v_mul_u32_u24_e32 v7, 3, v4
	v_mad_i32_i24 v53, 0xffffffb8, v20, v15
	v_cmp_lt_u32_e64 s0, 9, v16
	v_and_b32_e32 v3, 0xffff, v3
	v_mul_lo_u16 v8, v5, 10
	v_lshlrev_b32_e32 v39, 3, v7
	v_mul_lo_u16 v7, 0xcd, v11
	v_and_b32_e32 v5, 0xffff, v5
	v_mad_u32_u24 v3, 0x140, v3, 0
	v_sub_nc_u16 v11, v34, v8
	s_clause 0x1
	global_load_b64 v[78:79], v39, s[4:5] offset:16
	global_load_b128 v[58:61], v39, s[4:5]
	v_lshrrev_b16 v8, 11, v7
	v_lshlrev_b32_e32 v6, 3, v6
	v_and_b32_e32 v7, 0xff, v11
	v_and_b32_e32 v2, 0xffff, v2
	v_lshlrev_b32_e32 v0, 3, v0
	v_mul_lo_u16 v11, v8, 10
	v_lshlrev_b32_e32 v4, 3, v4
	v_mul_u32_u24_e32 v39, 3, v7
	v_mad_u32_u24 v2, 0x140, v2, 0
	s_delay_alu instid0(VALU_DEP_4) | instskip(NEXT) | instid1(VALU_DEP_4)
	v_sub_nc_u16 v11, v32, v11
	v_add3_u32 v3, v3, v4, v38
	s_delay_alu instid0(VALU_DEP_4) | instskip(NEXT) | instid1(VALU_DEP_4)
	v_lshlrev_b32_e32 v39, 3, v39
	v_add3_u32 v0, v2, v0, v38
	v_mad_u32_u24 v2, 0x140, v5, 0
	v_and_b32_e32 v11, 0xff, v11
	global_load_b128 v[62:65], v39, s[4:5]
	v_mul_u32_u24_e32 v45, 3, v11
	s_delay_alu instid0(VALU_DEP_1)
	v_lshlrev_b32_e32 v45, 3, v45
	s_clause 0x3
	global_load_b64 v[9:10], v[9:10], off offset:16
	global_load_b128 v[66:69], v45, s[4:5]
	global_load_b64 v[80:81], v39, s[4:5] offset:16
	global_load_b64 v[82:83], v45, s[4:5] offset:16
	ds_load_b64 v[51:52], v46
	ds_load_2addr_b64 v[70:73], v43 offset0:160 offset1:176
	v_lshl_add_u32 v45, v28, 3, v42
	ds_load_b64 v[84:85], v45
	ds_load_2addr_b64 v[74:77], v44 offset1:16
	ds_load_b64 v[86:87], v53
	ds_load_b64 v[88:89], v41
	s_waitcnt vmcnt(9) lgkmcnt(5)
	v_mul_f32_e32 v39, v48, v52
	v_mul_f32_e32 v15, v48, v51
	v_lshl_add_u32 v48, v26, 3, v42
	s_waitcnt lgkmcnt(4)
	v_mul_f32_e32 v94, v71, v50
	v_dual_mul_f32 v50, v70, v50 :: v_dual_fmac_f32 v39, v47, v51
	v_fma_f32 v95, v47, v52, -v15
	ds_load_b64 v[90:91], v48
	s_waitcnt vmcnt(8) lgkmcnt(4)
	v_mul_f32_e32 v47, v84, v55
	v_fma_f32 v97, v71, v49, -v50
	s_waitcnt vmcnt(7) lgkmcnt(3)
	v_mul_f32_e32 v50, v74, v14
	v_mul_f32_e32 v96, v73, v57
	;; [unrolled: 1-line block ×3, first 2 shown]
	v_fma_f32 v101, v85, v54, -v47
	v_fmac_f32_e32 v94, v70, v49
	v_fma_f32 v103, v75, v13, -v50
	v_dual_mul_f32 v15, v72, v57 :: v_dual_mul_f32 v98, v85, v55
	v_fmac_f32_e32 v96, v72, v56
	v_lshl_add_u32 v47, v24, 3, v42
	v_fmac_f32_e32 v100, v74, v13
	s_delay_alu instid0(VALU_DEP_4)
	v_fma_f32 v99, v73, v56, -v15
	ds_load_2addr_b64 v[70:73], v43 offset0:192 offset1:208
	s_waitcnt vmcnt(6)
	v_mul_f32_e32 v102, v77, v79
	v_lshl_add_u32 v49, v34, 3, v42
	v_mul_f32_e32 v13, v76, v79
	v_lshl_add_u32 v51, v36, 3, v42
	v_fmac_f32_e32 v98, v84, v54
	ds_load_b64 v[14:15], v47
	v_fmac_f32_e32 v102, v76, v78
	ds_load_b64 v[84:85], v49
	ds_load_b64 v[92:93], v51
	s_waitcnt vmcnt(5) lgkmcnt(4)
	v_mul_f32_e32 v79, v91, v59
	ds_load_2addr_b64 v[54:57], v43 offset0:224 offset1:240
	v_fma_f32 v78, v77, v78, -v13
	v_mul_f32_e32 v13, v90, v59
	v_lshl_add_u32 v50, v22, 3, v42
	v_fmac_f32_e32 v79, v90, v58
	ds_load_2addr_b64 v[74:77], v44 offset0:32 offset1:48
	v_fma_f32 v90, v91, v58, -v13
	ds_load_b64 v[58:59], v50
	s_waitcnt lgkmcnt(6)
	v_mul_f32_e32 v104, v71, v61
	v_mul_f32_e32 v52, v70, v61
	s_waitcnt vmcnt(4)
	s_delay_alu instid0(VALU_DEP_2)
	v_dual_mul_f32 v13, v72, v65 :: v_dual_fmac_f32 v104, v70, v60
	s_waitcnt lgkmcnt(5)
	v_dual_mul_f32 v70, v73, v65 :: v_dual_mul_f32 v91, v15, v63
	v_mul_f32_e32 v61, v14, v63
	v_fma_f32 v63, v71, v60, -v52
	v_fma_f32 v65, v73, v64, -v13
	s_waitcnt vmcnt(3) lgkmcnt(2)
	v_mul_f32_e32 v13, v57, v10
	s_waitcnt vmcnt(2)
	v_dual_mul_f32 v10, v56, v10 :: v_dual_mul_f32 v105, v55, v69
	v_lshl_add_u32 v52, v32, 3, v42
	v_fmac_f32_e32 v91, v14, v62
	v_mul_f32_e32 v14, v54, v69
	v_fmac_f32_e32 v13, v56, v9
	v_fma_f32 v56, v57, v9, -v10
	v_fmac_f32_e32 v105, v54, v68
	ds_load_b64 v[9:10], v52
	s_waitcnt lgkmcnt(1)
	v_mul_f32_e32 v54, v58, v67
	v_mul_f32_e32 v106, v59, v67
	v_fma_f32 v107, v55, v68, -v14
	s_waitcnt vmcnt(1)
	v_mul_f32_e32 v67, v75, v81
	v_mul_f32_e32 v14, v74, v81
	v_fma_f32 v81, v59, v66, -v54
	v_sub_f32_e32 v55, v39, v13
	v_dual_sub_f32 v59, v89, v97 :: v_dual_sub_f32 v54, v95, v56
	v_fmac_f32_e32 v106, v58, v66
	v_fma_f32 v66, v75, v80, -v14
	s_waitcnt vmcnt(0)
	v_mul_f32_e32 v14, v76, v83
	v_fma_f32 v13, v39, 2.0, -v55
	v_fma_f32 v39, v89, 2.0, -v59
	;; [unrolled: 1-line block ×3, first 2 shown]
	v_sub_f32_e32 v58, v88, v94
	v_fma_f32 v75, v77, v82, -v14
	v_fmac_f32_e32 v70, v72, v64
	v_fma_f32 v15, v15, v62, -v61
	v_sub_f32_e32 v14, v39, v57
	v_fma_f32 v56, v88, 2.0, -v58
	v_cndmask_b32_e64 v60, 0, 0x140, s0
	v_sub_f32_e32 v64, v87, v99
	v_sub_f32_e32 v62, v98, v100
	v_fma_f32 v57, v39, 2.0, -v14
	v_dual_sub_f32 v39, v86, v96 :: v_dual_sub_f32 v68, v101, v103
	v_dual_sub_f32 v13, v56, v13 :: v_dual_add_f32 v54, v58, v54
	v_dual_sub_f32 v55, v59, v55 :: v_dual_add_nc_u32 v60, 0, v60
	s_delay_alu instid0(VALU_DEP_3)
	v_fma_f32 v69, v86, 2.0, -v39
	v_fma_f32 v71, v87, 2.0, -v64
	;; [unrolled: 1-line block ×4, first 2 shown]
	v_fmac_f32_e32 v67, v74, v80
	v_fma_f32 v56, v56, 2.0, -v13
	v_fma_f32 v58, v58, 2.0, -v54
	v_fma_f32 v59, v59, 2.0, -v55
	v_add3_u32 v6, v60, v6, v38
	v_dual_sub_f32 v60, v69, v61 :: v_dual_sub_f32 v61, v71, v72
	s_waitcnt lgkmcnt(0)
	s_barrier
	buffer_gl0_inv
	ds_store_2addr_b64 v6, v[56:57], v[58:59] offset1:10
	v_fma_f32 v56, v69, 2.0, -v60
	v_fma_f32 v57, v71, 2.0, -v61
	v_dual_sub_f32 v72, v92, v104 :: v_dual_sub_f32 v71, v90, v78
	v_sub_f32_e32 v78, v91, v67
	v_dual_sub_f32 v69, v79, v102 :: v_dual_mul_f32 v108, v77, v83
	v_dual_add_f32 v58, v39, v68 :: v_dual_sub_f32 v59, v64, v62
	v_sub_f32_e32 v73, v93, v63
	v_fma_f32 v68, v92, 2.0, -v72
	s_delay_alu instid0(VALU_DEP_4)
	v_fma_f32 v74, v79, 2.0, -v69
	v_fmac_f32_e32 v108, v76, v82
	v_fma_f32 v62, v39, 2.0, -v58
	v_fma_f32 v63, v64, 2.0, -v59
	;; [unrolled: 1-line block ×4, first 2 shown]
	v_sub_f32_e32 v64, v68, v74
	v_dual_sub_f32 v77, v84, v70 :: v_dual_sub_f32 v80, v85, v65
	v_sub_f32_e32 v79, v15, v66
	s_delay_alu instid0(VALU_DEP_4) | instskip(NEXT) | instid1(VALU_DEP_4)
	v_sub_f32_e32 v65, v39, v76
	v_fma_f32 v66, v68, 2.0, -v64
	s_delay_alu instid0(VALU_DEP_4)
	v_fma_f32 v74, v84, 2.0, -v77
	v_fma_f32 v76, v85, 2.0, -v80
	;; [unrolled: 1-line block ×3, first 2 shown]
	v_add_f32_e32 v68, v72, v71
	v_fma_f32 v67, v91, 2.0, -v78
	ds_store_2addr_b64 v6, v[13:14], v[54:55] offset0:20 offset1:30
	v_dual_sub_f32 v71, v76, v15 :: v_dual_and_b32 v6, 0xffff, v8
	v_sub_f32_e32 v82, v106, v108
	v_sub_f32_e32 v70, v74, v67
	v_fma_f32 v67, v39, 2.0, -v65
	v_sub_f32_e32 v39, v10, v107
	v_mad_u32_u24 v4, 0x140, v6, 0
	v_dual_sub_f32 v15, v9, v105 :: v_dual_lshlrev_b32 v6, 3, v11
	v_sub_f32_e32 v69, v73, v69
	s_delay_alu instid0(VALU_DEP_4) | instskip(SKIP_1) | instid1(VALU_DEP_4)
	v_fma_f32 v85, v10, 2.0, -v39
	v_dual_sub_f32 v10, v80, v78 :: v_dual_lshlrev_b32 v5, 3, v7
	v_fma_f32 v84, v9, 2.0, -v15
	v_add_f32_e32 v9, v77, v79
	v_sub_f32_e32 v83, v81, v75
	v_fma_f32 v79, v106, 2.0, -v82
	v_fma_f32 v72, v72, 2.0, -v68
	;; [unrolled: 1-line block ×7, first 2 shown]
	v_add3_u32 v2, v2, v5, v38
	v_fma_f32 v81, v81, 2.0, -v83
	v_sub_f32_e32 v78, v84, v79
	v_add_f32_e32 v80, v15, v83
	ds_store_2addr_b64 v0, v[56:57], v[62:63] offset1:10
	ds_store_2addr_b64 v0, v[60:61], v[58:59] offset0:20 offset1:30
	ds_store_2addr_b64 v3, v[66:67], v[72:73] offset1:10
	ds_store_2addr_b64 v3, v[64:65], v[68:69] offset0:20 offset1:30
	;; [unrolled: 2-line block ×3, first 2 shown]
	v_add_nc_u32_e32 v2, -8, v16
	v_cmp_gt_u32_e64 s0, 40, v36
	v_mul_i32_i24_e32 v0, 3, v20
	v_sub_f32_e32 v79, v85, v81
	v_sub_f32_e32 v81, v39, v82
	v_fma_f32 v82, v84, 2.0, -v78
	v_fma_f32 v84, v15, 2.0, -v80
	v_cndmask_b32_e64 v15, v2, v36, s0
	v_lshlrev_b64 v[2:3], 3, v[0:1]
	v_mul_u32_u24_e32 v5, 3, v16
	v_fma_f32 v83, v85, 2.0, -v79
	v_fma_f32 v85, v39, 2.0, -v81
	v_mul_i32_i24_e32 v0, 3, v15
	v_add3_u32 v4, v4, v6, v38
	v_add_co_u32 v8, s0, s4, v2
	v_lshlrev_b32_e32 v39, 3, v5
	v_add_co_ci_u32_e64 v9, s0, s5, v3, s0
	v_lshlrev_b64 v[10:11], 3, v[0:1]
	ds_store_2addr_b64 v4, v[82:83], v[84:85] offset1:10
	ds_store_2addr_b64 v4, v[78:79], v[80:81] offset0:20 offset1:30
	s_waitcnt lgkmcnt(0)
	s_barrier
	buffer_gl0_inv
	s_clause 0x1
	global_load_b128 v[0:3], v39, s[4:5] offset:240
	global_load_b128 v[4:7], v[8:9], off offset:240
	v_add_co_u32 v10, s0, s4, v10
	s_delay_alu instid0(VALU_DEP_1)
	v_add_co_ci_u32_e64 v11, s0, s5, v11, s0
	s_clause 0x7
	global_load_b64 v[13:14], v[8:9], off offset:256
	global_load_b64 v[82:83], v[10:11], off offset:256
	global_load_b128 v[8:11], v[10:11], off offset:240
	global_load_b128 v[54:57], v39, s[4:5] offset:432
	global_load_b64 v[84:85], v39, s[4:5] offset:256
	global_load_b128 v[58:61], v39, s[4:5] offset:816
	global_load_b64 v[86:87], v39, s[4:5] offset:448
	global_load_b64 v[88:89], v39, s[4:5] offset:832
	ds_load_b64 v[90:91], v46
	ds_load_2addr_b64 v[62:65], v43 offset0:160 offset1:176
	ds_load_b64 v[92:93], v45
	ds_load_2addr_b64 v[66:69], v44 offset1:16
	ds_load_2addr_b64 v[70:73], v43 offset0:192 offset1:208
	ds_load_2addr_b64 v[74:77], v43 offset0:224 offset1:240
	;; [unrolled: 1-line block ×3, first 2 shown]
	ds_load_b64 v[94:95], v53
	ds_load_b64 v[96:97], v41
	;; [unrolled: 1-line block ×8, first 2 shown]
	v_cmp_lt_u32_e64 s0, 39, v36
	v_lshlrev_b32_e32 v15, 3, v15
	s_waitcnt vmcnt(0) lgkmcnt(0)
	s_barrier
	buffer_gl0_inv
	v_mul_f32_e32 v39, v1, v91
	v_mul_f32_e32 v1, v1, v90
	;; [unrolled: 1-line block ×4, first 2 shown]
	v_dual_mul_f32 v5, v5, v92 :: v_dual_mul_f32 v110, v3, v63
	v_mul_f32_e32 v3, v3, v62
	v_mul_f32_e32 v7, v64, v7
	;; [unrolled: 1-line block ×3, first 2 shown]
	v_fmac_f32_e32 v39, v0, v90
	v_fma_f32 v0, v0, v91, -v1
	v_mul_f32_e32 v1, v66, v14
	v_dual_fmac_f32 v111, v64, v6 :: v_dual_mul_f32 v64, v99, v55
	v_fmac_f32_e32 v112, v4, v92
	v_fma_f32 v4, v4, v93, -v5
	v_mul_f32_e32 v5, v98, v55
	v_mul_f32_e32 v55, v85, v77
	;; [unrolled: 1-line block ×3, first 2 shown]
	v_fmac_f32_e32 v110, v2, v62
	v_fma_f32 v2, v2, v63, -v3
	v_mul_f32_e32 v63, v71, v11
	v_fma_f32 v6, v65, v6, -v7
	v_mul_f32_e32 v7, v70, v11
	v_mul_f32_e32 v65, v85, v76
	v_dual_mul_f32 v3, v68, v83 :: v_dual_mul_f32 v62, v103, v9
	v_mul_f32_e32 v9, v102, v9
	v_mul_f32_e32 v11, v73, v57
	;; [unrolled: 1-line block ×6, first 2 shown]
	v_fmac_f32_e32 v113, v66, v13
	v_fma_f32 v1, v67, v13, -v1
	v_mul_f32_e32 v13, v106, v59
	v_dual_mul_f32 v66, v78, v87 :: v_dual_fmac_f32 v55, v84, v76
	v_dual_mul_f32 v59, v79, v87 :: v_dual_fmac_f32 v14, v68, v82
	v_mul_f32_e32 v67, v81, v89
	v_dual_mul_f32 v68, v80, v89 :: v_dual_fmac_f32 v63, v70, v10
	v_fma_f32 v7, v71, v10, -v7
	v_fma_f32 v10, v99, v54, -v5
	v_fma_f32 v5, v84, v77, -v65
	v_fma_f32 v3, v69, v82, -v3
	v_fmac_f32_e32 v62, v102, v8
	v_fma_f32 v8, v103, v8, -v9
	v_fmac_f32_e32 v11, v72, v56
	v_fma_f32 v9, v73, v56, -v57
	v_fmac_f32_e32 v64, v98, v54
	v_fmac_f32_e32 v83, v74, v60
	v_fma_f32 v54, v75, v60, -v61
	v_fmac_f32_e32 v85, v106, v58
	v_fma_f32 v13, v107, v58, -v13
	v_fma_f32 v56, v79, v86, -v66
	v_sub_f32_e32 v58, v96, v110
	v_sub_f32_e32 v60, v97, v2
	v_dual_sub_f32 v2, v39, v55 :: v_dual_fmac_f32 v59, v78, v86
	v_fmac_f32_e32 v67, v80, v88
	v_fma_f32 v57, v81, v88, -v68
	v_sub_f32_e32 v5, v0, v5
	v_sub_f32_e32 v61, v94, v111
	v_dual_sub_f32 v65, v95, v6 :: v_dual_sub_f32 v6, v112, v113
	v_sub_f32_e32 v55, v4, v1
	v_sub_f32_e32 v63, v104, v63
	v_dual_sub_f32 v66, v105, v7 :: v_dual_sub_f32 v7, v62, v14
	v_sub_f32_e32 v14, v8, v3
	v_sub_f32_e32 v56, v10, v56
	v_fma_f32 v69, v96, 2.0, -v58
	v_fma_f32 v39, v39, 2.0, -v2
	v_dual_sub_f32 v68, v100, v11 :: v_dual_sub_f32 v9, v101, v9
	v_sub_f32_e32 v11, v64, v59
	v_dual_sub_f32 v78, v108, v83 :: v_dual_sub_f32 v79, v109, v54
	v_sub_f32_e32 v77, v85, v67
	v_sub_f32_e32 v54, v13, v57
	v_fma_f32 v70, v97, 2.0, -v60
	v_fma_f32 v57, v0, 2.0, -v5
	;; [unrolled: 1-line block ×6, first 2 shown]
	v_add_f32_e32 v0, v58, v5
	v_fma_f32 v73, v104, 2.0, -v63
	v_fma_f32 v74, v105, 2.0, -v66
	;; [unrolled: 1-line block ×5, first 2 shown]
	v_sub_f32_e32 v10, v69, v39
	v_cndmask_b32_e64 v39, 0, 0x500, s0
	v_dual_sub_f32 v1, v60, v2 :: v_dual_add_f32 v2, v61, v55
	v_sub_f32_e32 v3, v65, v6
	v_dual_add_f32 v4, v63, v14 :: v_dual_sub_f32 v5, v66, v7
	v_fma_f32 v76, v100, 2.0, -v68
	v_fma_f32 v80, v101, 2.0, -v9
	;; [unrolled: 1-line block ×3, first 2 shown]
	v_dual_add_f32 v6, v68, v56 :: v_dual_sub_f32 v7, v9, v11
	v_fma_f32 v82, v108, 2.0, -v78
	v_fma_f32 v83, v109, 2.0, -v79
	v_fma_f32 v84, v85, 2.0, -v77
	v_fma_f32 v85, v13, 2.0, -v54
	v_sub_f32_e32 v11, v70, v57
	v_add_f32_e32 v8, v78, v54
	v_sub_f32_e32 v54, v71, v59
	v_sub_f32_e32 v55, v72, v67
	v_fma_f32 v13, v58, 2.0, -v0
	v_dual_sub_f32 v58, v73, v62 :: v_dual_sub_f32 v59, v74, v75
	v_add_nc_u32_e32 v39, 0, v39
	v_fma_f32 v14, v60, 2.0, -v1
	v_fma_f32 v56, v61, 2.0, -v2
	;; [unrolled: 1-line block ×5, first 2 shown]
	v_sub_f32_e32 v62, v76, v64
	v_sub_f32_e32 v63, v80, v81
	v_fma_f32 v64, v68, 2.0, -v6
	v_fma_f32 v65, v9, 2.0, -v7
	v_dual_sub_f32 v66, v82, v84 :: v_dual_sub_f32 v67, v83, v85
	v_fma_f32 v68, v69, 2.0, -v10
	v_fma_f32 v69, v70, 2.0, -v11
	v_sub_f32_e32 v9, v79, v77
	v_fma_f32 v70, v71, 2.0, -v54
	v_fma_f32 v71, v72, 2.0, -v55
	;; [unrolled: 1-line block ×4, first 2 shown]
	v_add3_u32 v15, v39, v15, v38
	v_fma_f32 v74, v76, 2.0, -v62
	v_fma_f32 v75, v80, 2.0, -v63
	;; [unrolled: 1-line block ×6, first 2 shown]
	ds_store_2addr_b64 v43, v[68:69], v[13:14] offset1:40
	ds_store_2addr_b64 v43, v[10:11], v[0:1] offset0:80 offset1:120
	ds_store_2addr_b64 v53, v[70:71], v[56:57] offset1:40
	ds_store_2addr_b64 v53, v[54:55], v[2:3] offset0:80 offset1:120
	;; [unrolled: 2-line block ×3, first 2 shown]
	ds_store_2addr_b64 v43, v[74:75], v[76:77] offset0:168 offset1:184
	ds_store_2addr_b64 v43, v[64:65], v[78:79] offset0:208 offset1:224
	;; [unrolled: 1-line block ×4, first 2 shown]
	v_lshlrev_b64 v[0:1], 3, v[16:17]
	v_lshlrev_b64 v[2:3], 3, v[20:21]
	;; [unrolled: 1-line block ×3, first 2 shown]
	s_waitcnt lgkmcnt(0)
	s_barrier
	buffer_gl0_inv
	v_add_co_u32 v38, s0, s4, v0
	s_delay_alu instid0(VALU_DEP_1) | instskip(SKIP_2) | instid1(VALU_DEP_1)
	v_add_co_ci_u32_e64 v39, s0, s5, v1, s0
	v_lshlrev_b64 v[0:1], 3, v[36:37]
	v_add_co_u32 v36, s0, s4, v2
	v_add_co_ci_u32_e64 v37, s0, s5, v3, s0
	v_lshlrev_b64 v[2:3], 3, v[34:35]
	s_delay_alu instid0(VALU_DEP_4) | instskip(NEXT) | instid1(VALU_DEP_1)
	v_add_co_u32 v14, s0, s4, v0
	v_add_co_ci_u32_e64 v15, s0, s5, v1, s0
	v_lshlrev_b64 v[0:1], 3, v[32:33]
	s_delay_alu instid0(VALU_DEP_4) | instskip(NEXT) | instid1(VALU_DEP_1)
	;; [unrolled: 4-line block ×6, first 2 shown]
	v_add_co_u32 v4, s0, s4, v2
	v_add_co_ci_u32_e64 v5, s0, s5, v3, s0
	s_clause 0x3
	global_load_b64 v[33:34], v[38:39], off offset:1200
	global_load_b64 v[62:63], v[36:37], off offset:1200
	global_load_b64 v[64:65], v[14:15], off offset:1200
	global_load_b64 v[66:67], v[10:11], off offset:1200
	v_add_co_u32 v2, s0, s4, v0
	s_delay_alu instid0(VALU_DEP_1) | instskip(SKIP_1) | instid1(VALU_DEP_1)
	v_add_co_ci_u32_e64 v3, s0, s5, v1, s0
	v_add_co_u32 v0, s0, s4, v21
	v_add_co_ci_u32_e64 v1, s0, s5, v22, s0
	s_clause 0x5
	global_load_b64 v[68:69], v[12:13], off offset:1200
	global_load_b64 v[70:71], v[8:9], off offset:1200
	;; [unrolled: 1-line block ×6, first 2 shown]
	ds_load_2addr_b64 v[21:24], v43 offset0:160 offset1:176
	ds_load_2addr_b64 v[25:28], v43 offset0:192 offset1:208
	ds_load_b64 v[80:81], v41
	ds_load_2addr_b64 v[29:32], v43 offset0:224 offset1:240
	ds_load_2addr_b64 v[54:57], v44 offset1:16
	ds_load_b64 v[82:83], v51
	ds_load_b64 v[84:85], v45
	ds_load_b64 v[86:87], v53
	ds_load_b64 v[88:89], v46
	ds_load_2addr_b64 v[58:61], v44 offset0:32 offset1:48
	ds_load_b64 v[90:91], v52
	ds_load_b64 v[92:93], v47
	;; [unrolled: 1-line block ×5, first 2 shown]
	s_waitcnt vmcnt(0) lgkmcnt(0)
	s_barrier
	buffer_gl0_inv
	v_cmp_ne_u32_e64 s0, 0, v16
	v_mul_f32_e32 v17, v34, v22
	v_dual_mul_f32 v34, v34, v21 :: v_dual_mul_f32 v35, v63, v24
	v_dual_mul_f32 v44, v63, v23 :: v_dual_mul_f32 v63, v65, v26
	;; [unrolled: 1-line block ×3, first 2 shown]
	v_mul_f32_e32 v67, v67, v27
	v_fmac_f32_e32 v17, v33, v21
	v_fma_f32 v22, v33, v22, -v34
	v_mul_f32_e32 v101, v30, v69
	v_dual_mul_f32 v69, v29, v69 :: v_dual_mul_f32 v102, v32, v71
	v_mul_f32_e32 v71, v31, v71
	v_mul_f32_e32 v103, v55, v73
	v_dual_mul_f32 v73, v54, v73 :: v_dual_mul_f32 v104, v57, v75
	v_mul_f32_e32 v75, v56, v75
	;; [unrolled: 3-line block ×3, first 2 shown]
	v_fmac_f32_e32 v35, v62, v23
	v_fma_f32 v24, v62, v24, -v44
	v_fmac_f32_e32 v63, v64, v25
	v_fma_f32 v26, v64, v26, -v65
	;; [unrolled: 2-line block ×9, first 2 shown]
	v_dual_sub_f32 v21, v80, v17 :: v_dual_sub_f32 v22, v81, v22
	v_sub_f32_e32 v23, v86, v35
	s_delay_alu instid0(VALU_DEP_4)
	v_sub_f32_e32 v58, v98, v106
	v_dual_sub_f32 v24, v87, v24 :: v_dual_sub_f32 v25, v82, v63
	v_dual_sub_f32 v26, v83, v26 :: v_dual_sub_f32 v27, v94, v100
	;; [unrolled: 1-line block ×3, first 2 shown]
	v_sub_f32_e32 v30, v91, v30
	v_dual_sub_f32 v31, v88, v102 :: v_dual_sub_f32 v32, v89, v32
	v_dual_sub_f32 v33, v84, v103 :: v_dual_sub_f32 v34, v85, v34
	v_sub_f32_e32 v54, v96, v104
	v_dual_sub_f32 v55, v97, v44 :: v_dual_sub_f32 v56, v92, v105
	v_sub_f32_e32 v57, v93, v57
	v_sub_f32_e32 v59, v99, v59
	v_fma_f32 v60, v80, 2.0, -v21
	v_fma_f32 v61, v81, 2.0, -v22
	;; [unrolled: 1-line block ×20, first 2 shown]
	ds_store_2addr_b64 v43, v[60:61], v[21:22] offset1:160
	ds_store_2addr_b64 v53, v[62:63], v[23:24] offset1:160
	;; [unrolled: 1-line block ×10, first 2 shown]
	s_waitcnt lgkmcnt(0)
	s_barrier
	buffer_gl0_inv
	ds_load_b64 v[23:24], v41
	v_sub_nc_u32_e32 v17, v42, v40
                                        ; implicit-def: $vgpr21
                                        ; implicit-def: $vgpr25
                                        ; implicit-def: $vgpr26
	s_and_saveexec_b32 s1, s0
	s_delay_alu instid0(SALU_CYCLE_1)
	s_xor_b32 s0, exec_lo, s1
	s_cbranch_execz .LBB0_15
; %bb.14:
	global_load_b64 v[27:28], v[38:39], off offset:2480
	ds_load_b64 v[21:22], v17 offset:2560
	s_waitcnt lgkmcnt(0)
	v_dual_sub_f32 v25, v23, v21 :: v_dual_add_f32 v26, v22, v24
	v_dual_sub_f32 v22, v24, v22 :: v_dual_add_f32 v21, v21, v23
	s_delay_alu instid0(VALU_DEP_2) | instskip(SKIP_1) | instid1(VALU_DEP_1)
	v_dual_mul_f32 v24, 0.5, v25 :: v_dual_mul_f32 v23, 0.5, v26
	s_waitcnt vmcnt(0)
	v_mul_f32_e32 v26, v28, v24
	s_delay_alu instid0(VALU_DEP_1) | instskip(SKIP_2) | instid1(VALU_DEP_3)
	v_fma_f32 v25, 0.5, v21, v26
	v_mul_f32_e32 v22, 0.5, v22
	v_fma_f32 v21, v21, 0.5, -v26
	v_fmac_f32_e32 v25, v27, v23
	s_delay_alu instid0(VALU_DEP_3) | instskip(SKIP_1) | instid1(VALU_DEP_4)
	v_fma_f32 v29, v23, v28, v22
	v_fma_f32 v22, v23, v28, -v22
	v_fma_f32 v21, -v27, v23, v21
	s_delay_alu instid0(VALU_DEP_3) | instskip(NEXT) | instid1(VALU_DEP_3)
	v_fma_f32 v26, -v27, v24, v29
	v_fma_f32 v22, -v27, v24, v22
                                        ; implicit-def: $vgpr23_vgpr24
.LBB0_15:
	s_and_not1_saveexec_b32 s0, s0
	s_cbranch_execz .LBB0_17
; %bb.16:
	ds_load_b32 v22, v42 offset:1284
	s_waitcnt lgkmcnt(1)
	v_dual_add_f32 v25, v23, v24 :: v_dual_mov_b32 v26, 0
	v_sub_f32_e32 v21, v23, v24
	s_waitcnt lgkmcnt(0)
	v_xor_b32_e32 v23, 0x80000000, v22
	v_mov_b32_e32 v22, 0
	ds_store_b32 v42, v23 offset:1284
.LBB0_17:
	s_or_b32 exec_lo, exec_lo, s0
	s_waitcnt lgkmcnt(0)
	s_clause 0x5
	global_load_b64 v[23:24], v[36:37], off offset:2480
	global_load_b64 v[14:15], v[14:15], off offset:2480
	;; [unrolled: 1-line block ×6, first 2 shown]
	v_lshl_add_u32 v27, v20, 3, v42
	ds_store_2addr_b32 v41, v25, v26 offset1:1
	ds_store_b64 v17, v[21:22] offset:2560
	global_load_b64 v[4:5], v[4:5], off offset:2480
	ds_load_b64 v[20:21], v27
	ds_load_b64 v[25:26], v17 offset:2432
	global_load_b64 v[2:3], v[2:3], off offset:2480
	s_waitcnt lgkmcnt(0)
	v_sub_f32_e32 v22, v20, v25
	v_add_f32_e32 v28, v21, v26
	v_dual_sub_f32 v21, v21, v26 :: v_dual_add_f32 v20, v20, v25
	s_delay_alu instid0(VALU_DEP_1) | instskip(SKIP_1) | instid1(VALU_DEP_1)
	v_dual_mul_f32 v22, 0.5, v22 :: v_dual_mul_f32 v21, 0.5, v21
	s_waitcnt vmcnt(7)
	v_dual_mul_f32 v26, 0.5, v28 :: v_dual_mul_f32 v25, v24, v22
	s_delay_alu instid0(VALU_DEP_1) | instskip(SKIP_1) | instid1(VALU_DEP_3)
	v_fma_f32 v28, v26, v24, v21
	v_fma_f32 v21, v26, v24, -v21
	v_fma_f32 v24, 0.5, v20, v25
	v_fma_f32 v20, v20, 0.5, -v25
	s_delay_alu instid0(VALU_DEP_4) | instskip(NEXT) | instid1(VALU_DEP_4)
	v_fma_f32 v25, -v23, v22, v28
	v_fma_f32 v21, -v23, v22, v21
	s_delay_alu instid0(VALU_DEP_4) | instskip(NEXT) | instid1(VALU_DEP_4)
	v_fmac_f32_e32 v24, v23, v26
	v_fma_f32 v20, -v23, v26, v20
	ds_store_2addr_b32 v27, v24, v25 offset1:1
	ds_store_b64 v17, v[20:21] offset:2432
	ds_load_b64 v[20:21], v51
	ds_load_b64 v[22:23], v17 offset:2304
	global_load_b64 v[0:1], v[0:1], off offset:2480
	s_waitcnt lgkmcnt(0)
	v_dual_sub_f32 v24, v20, v22 :: v_dual_add_f32 v25, v21, v23
	v_sub_f32_e32 v21, v21, v23
	s_delay_alu instid0(VALU_DEP_2) | instskip(NEXT) | instid1(VALU_DEP_2)
	v_dual_mul_f32 v23, 0.5, v24 :: v_dual_mul_f32 v24, 0.5, v25
	v_dual_mul_f32 v21, 0.5, v21 :: v_dual_add_f32 v20, v20, v22
	s_waitcnt vmcnt(7)
	s_delay_alu instid0(VALU_DEP_2) | instskip(NEXT) | instid1(VALU_DEP_2)
	v_mul_f32_e32 v22, v15, v23
	v_fma_f32 v25, v24, v15, v21
	v_fma_f32 v15, v24, v15, -v21
	s_delay_alu instid0(VALU_DEP_3) | instskip(NEXT) | instid1(VALU_DEP_2)
	v_fma_f32 v21, 0.5, v20, v22
	v_fma_f32 v15, -v14, v23, v15
	s_delay_alu instid0(VALU_DEP_2) | instskip(SKIP_2) | instid1(VALU_DEP_2)
	v_fmac_f32_e32 v21, v14, v24
	v_fma_f32 v20, v20, 0.5, -v22
	v_fma_f32 v22, -v14, v23, v25
	v_fma_f32 v14, -v14, v24, v20
	ds_store_2addr_b32 v51, v21, v22 offset1:1
	ds_store_b64 v17, v[14:15] offset:2304
	ds_load_b64 v[14:15], v49
	ds_load_b64 v[20:21], v17 offset:2176
	s_waitcnt lgkmcnt(0)
	v_dual_sub_f32 v22, v14, v20 :: v_dual_add_f32 v23, v15, v21
	v_dual_sub_f32 v15, v15, v21 :: v_dual_add_f32 v14, v14, v20
	s_delay_alu instid0(VALU_DEP_2) | instskip(SKIP_1) | instid1(VALU_DEP_1)
	v_dual_mul_f32 v21, 0.5, v22 :: v_dual_mul_f32 v22, 0.5, v23
	s_waitcnt vmcnt(6)
	v_dual_mul_f32 v15, 0.5, v15 :: v_dual_mul_f32 v20, v11, v21
	s_delay_alu instid0(VALU_DEP_1) | instskip(SKIP_1) | instid1(VALU_DEP_3)
	v_fma_f32 v23, v22, v11, v15
	v_fma_f32 v11, v22, v11, -v15
	v_fma_f32 v15, 0.5, v14, v20
	s_delay_alu instid0(VALU_DEP_2) | instskip(NEXT) | instid1(VALU_DEP_2)
	v_fma_f32 v11, -v10, v21, v11
	v_fmac_f32_e32 v15, v10, v22
	v_fma_f32 v14, v14, 0.5, -v20
	v_fma_f32 v20, -v10, v21, v23
	s_delay_alu instid0(VALU_DEP_2)
	v_fma_f32 v10, -v10, v22, v14
	ds_store_2addr_b32 v49, v15, v20 offset1:1
	ds_store_b64 v17, v[10:11] offset:2176
	ds_load_b64 v[10:11], v52
	ds_load_b64 v[14:15], v17 offset:2048
	s_waitcnt lgkmcnt(0)
	v_dual_sub_f32 v20, v10, v14 :: v_dual_add_f32 v21, v11, v15
	v_dual_sub_f32 v11, v11, v15 :: v_dual_add_f32 v10, v10, v14
	s_delay_alu instid0(VALU_DEP_2) | instskip(NEXT) | instid1(VALU_DEP_2)
	v_dual_mul_f32 v15, 0.5, v20 :: v_dual_mul_f32 v20, 0.5, v21
	v_mul_f32_e32 v11, 0.5, v11
	s_waitcnt vmcnt(5)
	s_delay_alu instid0(VALU_DEP_2) | instskip(NEXT) | instid1(VALU_DEP_2)
	v_mul_f32_e32 v14, v13, v15
	v_fma_f32 v21, v20, v13, v11
	v_fma_f32 v11, v20, v13, -v11
	s_delay_alu instid0(VALU_DEP_3) | instskip(NEXT) | instid1(VALU_DEP_2)
	v_fma_f32 v13, 0.5, v10, v14
	v_fma_f32 v11, -v12, v15, v11
	s_delay_alu instid0(VALU_DEP_2) | instskip(SKIP_2) | instid1(VALU_DEP_2)
	v_fmac_f32_e32 v13, v12, v20
	v_fma_f32 v10, v10, 0.5, -v14
	v_fma_f32 v14, -v12, v15, v21
	v_fma_f32 v10, -v12, v20, v10
	ds_store_2addr_b32 v52, v13, v14 offset1:1
	ds_store_b64 v17, v[10:11] offset:2048
	ds_load_b64 v[10:11], v46
	ds_load_b64 v[12:13], v17 offset:1920
	s_waitcnt lgkmcnt(0)
	v_dual_sub_f32 v14, v10, v12 :: v_dual_add_f32 v15, v11, v13
	v_dual_sub_f32 v11, v11, v13 :: v_dual_add_f32 v10, v10, v12
	s_delay_alu instid0(VALU_DEP_2) | instskip(SKIP_1) | instid1(VALU_DEP_1)
	v_dual_mul_f32 v13, 0.5, v14 :: v_dual_mul_f32 v14, 0.5, v15
	s_waitcnt vmcnt(4)
	v_dual_mul_f32 v11, 0.5, v11 :: v_dual_mul_f32 v12, v9, v13
	s_delay_alu instid0(VALU_DEP_1) | instskip(SKIP_1) | instid1(VALU_DEP_3)
	v_fma_f32 v15, v14, v9, v11
	v_fma_f32 v9, v14, v9, -v11
	v_fma_f32 v11, 0.5, v10, v12
	v_fma_f32 v10, v10, 0.5, -v12
	s_delay_alu instid0(VALU_DEP_4) | instskip(NEXT) | instid1(VALU_DEP_4)
	v_fma_f32 v12, -v8, v13, v15
	v_fma_f32 v9, -v8, v13, v9
	s_delay_alu instid0(VALU_DEP_4) | instskip(NEXT) | instid1(VALU_DEP_4)
	v_fmac_f32_e32 v11, v8, v14
	v_fma_f32 v8, -v8, v14, v10
	ds_store_2addr_b32 v46, v11, v12 offset1:1
	ds_store_b64 v17, v[8:9] offset:1920
	ds_load_b64 v[8:9], v45
	ds_load_b64 v[10:11], v17 offset:1792
	s_waitcnt lgkmcnt(0)
	v_dual_sub_f32 v12, v8, v10 :: v_dual_add_f32 v13, v9, v11
	v_dual_sub_f32 v9, v9, v11 :: v_dual_add_f32 v8, v8, v10
	s_delay_alu instid0(VALU_DEP_2) | instskip(SKIP_1) | instid1(VALU_DEP_1)
	v_dual_mul_f32 v11, 0.5, v12 :: v_dual_mul_f32 v12, 0.5, v13
	s_waitcnt vmcnt(3)
	v_dual_mul_f32 v9, 0.5, v9 :: v_dual_mul_f32 v10, v7, v11
	s_delay_alu instid0(VALU_DEP_1) | instskip(SKIP_1) | instid1(VALU_DEP_3)
	v_fma_f32 v13, v12, v7, v9
	v_fma_f32 v7, v12, v7, -v9
	v_fma_f32 v9, 0.5, v8, v10
	v_fma_f32 v8, v8, 0.5, -v10
	s_delay_alu instid0(VALU_DEP_4) | instskip(NEXT) | instid1(VALU_DEP_4)
	v_fma_f32 v10, -v6, v11, v13
	v_fma_f32 v7, -v6, v11, v7
	s_delay_alu instid0(VALU_DEP_4) | instskip(NEXT) | instid1(VALU_DEP_4)
	v_fmac_f32_e32 v9, v6, v12
	;; [unrolled: 22-line block ×3, first 2 shown]
	v_fma_f32 v4, -v4, v10, v6
	ds_store_2addr_b32 v48, v7, v8 offset1:1
	ds_store_b64 v17, v[4:5] offset:1664
	ds_load_b64 v[4:5], v47
	ds_load_b64 v[6:7], v17 offset:1536
	s_waitcnt lgkmcnt(0)
	v_dual_sub_f32 v8, v4, v6 :: v_dual_add_f32 v9, v5, v7
	v_dual_add_f32 v4, v4, v6 :: v_dual_sub_f32 v5, v5, v7
	s_delay_alu instid0(VALU_DEP_2) | instskip(SKIP_1) | instid1(VALU_DEP_1)
	v_dual_mul_f32 v7, 0.5, v8 :: v_dual_mul_f32 v8, 0.5, v9
	s_waitcnt vmcnt(1)
	v_dual_mul_f32 v5, 0.5, v5 :: v_dual_mul_f32 v6, v3, v7
	s_delay_alu instid0(VALU_DEP_1) | instskip(SKIP_1) | instid1(VALU_DEP_3)
	v_fma_f32 v9, v8, v3, v5
	v_fma_f32 v3, v8, v3, -v5
	v_fma_f32 v5, 0.5, v4, v6
	v_fma_f32 v4, v4, 0.5, -v6
	s_delay_alu instid0(VALU_DEP_4) | instskip(NEXT) | instid1(VALU_DEP_4)
	v_fma_f32 v6, -v2, v7, v9
	v_fma_f32 v3, -v2, v7, v3
	s_delay_alu instid0(VALU_DEP_4) | instskip(NEXT) | instid1(VALU_DEP_4)
	v_fmac_f32_e32 v5, v2, v8
	v_fma_f32 v2, -v2, v8, v4
	ds_store_2addr_b32 v47, v5, v6 offset1:1
	ds_store_b64 v17, v[2:3] offset:1536
	ds_load_b64 v[2:3], v50
	ds_load_b64 v[4:5], v17 offset:1408
	s_waitcnt lgkmcnt(0)
	v_dual_sub_f32 v6, v2, v4 :: v_dual_add_f32 v7, v3, v5
	v_dual_add_f32 v2, v2, v4 :: v_dual_sub_f32 v3, v3, v5
	s_delay_alu instid0(VALU_DEP_2) | instskip(SKIP_1) | instid1(VALU_DEP_1)
	v_dual_mul_f32 v5, 0.5, v6 :: v_dual_mul_f32 v6, 0.5, v7
	s_waitcnt vmcnt(0)
	v_dual_mul_f32 v3, 0.5, v3 :: v_dual_mul_f32 v4, v1, v5
	s_delay_alu instid0(VALU_DEP_1) | instskip(SKIP_1) | instid1(VALU_DEP_3)
	v_fma_f32 v7, v6, v1, v3
	v_fma_f32 v1, v6, v1, -v3
	v_fma_f32 v3, 0.5, v2, v4
	v_fma_f32 v2, v2, 0.5, -v4
	s_delay_alu instid0(VALU_DEP_4) | instskip(NEXT) | instid1(VALU_DEP_4)
	v_fma_f32 v4, -v0, v5, v7
	v_fma_f32 v1, -v0, v5, v1
	s_delay_alu instid0(VALU_DEP_4) | instskip(NEXT) | instid1(VALU_DEP_4)
	v_fmac_f32_e32 v3, v0, v6
	v_fma_f32 v0, -v0, v6, v2
	ds_store_2addr_b32 v50, v3, v4 offset1:1
	ds_store_b64 v17, v[0:1] offset:1408
	s_waitcnt lgkmcnt(0)
	s_barrier
	buffer_gl0_inv
	s_and_saveexec_b32 s0, vcc_lo
	s_cbranch_execz .LBB0_20
; %bb.18:
	v_add_co_u32 v0, vcc_lo, s8, v18
	v_add_nc_u32_e32 v42, 0x800, v41
	v_add_co_ci_u32_e32 v1, vcc_lo, s9, v19, vcc_lo
	ds_load_2addr_b64 v[2:5], v41 offset1:16
	ds_load_2addr_b64 v[6:9], v41 offset0:32 offset1:48
	ds_load_2addr_b64 v[10:13], v41 offset0:64 offset1:80
	ds_load_2addr_b64 v[17:20], v41 offset0:96 offset1:112
	ds_load_2addr_b64 v[21:24], v41 offset0:128 offset1:144
	ds_load_2addr_b64 v[25:28], v41 offset0:160 offset1:176
	ds_load_2addr_b64 v[29:32], v41 offset0:192 offset1:208
	ds_load_2addr_b64 v[33:36], v41 offset0:224 offset1:240
	v_add_co_u32 v14, vcc_lo, v0, v40
	ds_load_2addr_b64 v[37:40], v42 offset1:16
	ds_load_2addr_b64 v[42:45], v42 offset0:32 offset1:48
	v_add_co_ci_u32_e32 v15, vcc_lo, 0, v1, vcc_lo
	v_cmp_eq_u32_e32 vcc_lo, 15, v16
	s_waitcnt lgkmcnt(9)
	s_clause 0x1
	global_store_b64 v[14:15], v[2:3], off
	global_store_b64 v[14:15], v[4:5], off offset:128
	s_waitcnt lgkmcnt(8)
	s_clause 0x1
	global_store_b64 v[14:15], v[6:7], off offset:256
	global_store_b64 v[14:15], v[8:9], off offset:384
	s_waitcnt lgkmcnt(7)
	s_clause 0x1
	global_store_b64 v[14:15], v[10:11], off offset:512
	;; [unrolled: 4-line block ×9, first 2 shown]
	global_store_b64 v[14:15], v[44:45], off offset:2432
	s_and_b32 exec_lo, exec_lo, vcc_lo
	s_cbranch_execz .LBB0_20
; %bb.19:
	ds_load_b64 v[2:3], v41 offset:2440
	s_waitcnt lgkmcnt(0)
	global_store_b64 v[0:1], v[2:3], off offset:2560
.LBB0_20:
	s_nop 0
	s_sendmsg sendmsg(MSG_DEALLOC_VGPRS)
	s_endpgm
	.section	.rodata,"a",@progbits
	.p2align	6, 0x0
	.amdhsa_kernel fft_rtc_back_len320_factors_10_4_4_2_wgs_64_tpt_16_halfLds_sp_ip_CI_unitstride_sbrr_R2C_dirReg
		.amdhsa_group_segment_fixed_size 0
		.amdhsa_private_segment_fixed_size 0
		.amdhsa_kernarg_size 88
		.amdhsa_user_sgpr_count 15
		.amdhsa_user_sgpr_dispatch_ptr 0
		.amdhsa_user_sgpr_queue_ptr 0
		.amdhsa_user_sgpr_kernarg_segment_ptr 1
		.amdhsa_user_sgpr_dispatch_id 0
		.amdhsa_user_sgpr_private_segment_size 0
		.amdhsa_wavefront_size32 1
		.amdhsa_uses_dynamic_stack 0
		.amdhsa_enable_private_segment 0
		.amdhsa_system_sgpr_workgroup_id_x 1
		.amdhsa_system_sgpr_workgroup_id_y 0
		.amdhsa_system_sgpr_workgroup_id_z 0
		.amdhsa_system_sgpr_workgroup_info 0
		.amdhsa_system_vgpr_workitem_id 0
		.amdhsa_next_free_vgpr 115
		.amdhsa_next_free_sgpr 21
		.amdhsa_reserve_vcc 1
		.amdhsa_float_round_mode_32 0
		.amdhsa_float_round_mode_16_64 0
		.amdhsa_float_denorm_mode_32 3
		.amdhsa_float_denorm_mode_16_64 3
		.amdhsa_dx10_clamp 1
		.amdhsa_ieee_mode 1
		.amdhsa_fp16_overflow 0
		.amdhsa_workgroup_processor_mode 1
		.amdhsa_memory_ordered 1
		.amdhsa_forward_progress 0
		.amdhsa_shared_vgpr_count 0
		.amdhsa_exception_fp_ieee_invalid_op 0
		.amdhsa_exception_fp_denorm_src 0
		.amdhsa_exception_fp_ieee_div_zero 0
		.amdhsa_exception_fp_ieee_overflow 0
		.amdhsa_exception_fp_ieee_underflow 0
		.amdhsa_exception_fp_ieee_inexact 0
		.amdhsa_exception_int_div_zero 0
	.end_amdhsa_kernel
	.text
.Lfunc_end0:
	.size	fft_rtc_back_len320_factors_10_4_4_2_wgs_64_tpt_16_halfLds_sp_ip_CI_unitstride_sbrr_R2C_dirReg, .Lfunc_end0-fft_rtc_back_len320_factors_10_4_4_2_wgs_64_tpt_16_halfLds_sp_ip_CI_unitstride_sbrr_R2C_dirReg
                                        ; -- End function
	.section	.AMDGPU.csdata,"",@progbits
; Kernel info:
; codeLenInByte = 10116
; NumSgprs: 23
; NumVgprs: 115
; ScratchSize: 0
; MemoryBound: 0
; FloatMode: 240
; IeeeMode: 1
; LDSByteSize: 0 bytes/workgroup (compile time only)
; SGPRBlocks: 2
; VGPRBlocks: 14
; NumSGPRsForWavesPerEU: 23
; NumVGPRsForWavesPerEU: 115
; Occupancy: 12
; WaveLimiterHint : 1
; COMPUTE_PGM_RSRC2:SCRATCH_EN: 0
; COMPUTE_PGM_RSRC2:USER_SGPR: 15
; COMPUTE_PGM_RSRC2:TRAP_HANDLER: 0
; COMPUTE_PGM_RSRC2:TGID_X_EN: 1
; COMPUTE_PGM_RSRC2:TGID_Y_EN: 0
; COMPUTE_PGM_RSRC2:TGID_Z_EN: 0
; COMPUTE_PGM_RSRC2:TIDIG_COMP_CNT: 0
	.text
	.p2alignl 7, 3214868480
	.fill 96, 4, 3214868480
	.type	__hip_cuid_bcb21784c07fabd8,@object ; @__hip_cuid_bcb21784c07fabd8
	.section	.bss,"aw",@nobits
	.globl	__hip_cuid_bcb21784c07fabd8
__hip_cuid_bcb21784c07fabd8:
	.byte	0                               ; 0x0
	.size	__hip_cuid_bcb21784c07fabd8, 1

	.ident	"AMD clang version 19.0.0git (https://github.com/RadeonOpenCompute/llvm-project roc-6.4.0 25133 c7fe45cf4b819c5991fe208aaa96edf142730f1d)"
	.section	".note.GNU-stack","",@progbits
	.addrsig
	.addrsig_sym __hip_cuid_bcb21784c07fabd8
	.amdgpu_metadata
---
amdhsa.kernels:
  - .args:
      - .actual_access:  read_only
        .address_space:  global
        .offset:         0
        .size:           8
        .value_kind:     global_buffer
      - .offset:         8
        .size:           8
        .value_kind:     by_value
      - .actual_access:  read_only
        .address_space:  global
        .offset:         16
        .size:           8
        .value_kind:     global_buffer
      - .actual_access:  read_only
        .address_space:  global
        .offset:         24
        .size:           8
        .value_kind:     global_buffer
      - .offset:         32
        .size:           8
        .value_kind:     by_value
      - .actual_access:  read_only
        .address_space:  global
        .offset:         40
        .size:           8
        .value_kind:     global_buffer
      - .actual_access:  read_only
        .address_space:  global
        .offset:         48
        .size:           8
        .value_kind:     global_buffer
      - .offset:         56
        .size:           4
        .value_kind:     by_value
      - .actual_access:  read_only
        .address_space:  global
        .offset:         64
        .size:           8
        .value_kind:     global_buffer
      - .actual_access:  read_only
        .address_space:  global
        .offset:         72
        .size:           8
        .value_kind:     global_buffer
      - .address_space:  global
        .offset:         80
        .size:           8
        .value_kind:     global_buffer
    .group_segment_fixed_size: 0
    .kernarg_segment_align: 8
    .kernarg_segment_size: 88
    .language:       OpenCL C
    .language_version:
      - 2
      - 0
    .max_flat_workgroup_size: 64
    .name:           fft_rtc_back_len320_factors_10_4_4_2_wgs_64_tpt_16_halfLds_sp_ip_CI_unitstride_sbrr_R2C_dirReg
    .private_segment_fixed_size: 0
    .sgpr_count:     23
    .sgpr_spill_count: 0
    .symbol:         fft_rtc_back_len320_factors_10_4_4_2_wgs_64_tpt_16_halfLds_sp_ip_CI_unitstride_sbrr_R2C_dirReg.kd
    .uniform_work_group_size: 1
    .uses_dynamic_stack: false
    .vgpr_count:     115
    .vgpr_spill_count: 0
    .wavefront_size: 32
    .workgroup_processor_mode: 1
amdhsa.target:   amdgcn-amd-amdhsa--gfx1100
amdhsa.version:
  - 1
  - 2
...

	.end_amdgpu_metadata
